;; amdgpu-corpus repo=ROCm/MIOpen kind=compiled arch=gfx1100 opt=O3
	.text
	.amdgcn_target "amdgcn-amd-amdhsa--gfx1100"
	.amdhsa_code_object_version 6
	.protected	GroupNormFwdContiguous  ; -- Begin function GroupNormFwdContiguous
	.globl	GroupNormFwdContiguous
	.p2align	8
	.type	GroupNormFwdContiguous,@function
GroupNormFwdContiguous:                 ; @GroupNormFwdContiguous
; %bb.0:
	s_clause 0x1
	s_load_b128 s[4:7], s[0:1], 0x38
	s_load_b64 s[16:17], s[0:1], 0x48
	s_mov_b32 s24, s15
	s_waitcnt lgkmcnt(0)
	s_mul_i32 s2, s16, s7
	s_mul_hi_u32 s3, s16, s6
	s_mul_i32 s8, s17, s6
	s_add_i32 s2, s3, s2
	s_delay_alu instid0(SALU_CYCLE_1) | instskip(SKIP_1) | instid1(SALU_CYCLE_1)
	s_add_i32 s3, s2, s8
	s_mul_i32 s2, s16, s6
	s_or_b64 s[8:9], s[2:3], s[4:5]
	s_mov_b32 s8, 0
	s_delay_alu instid0(SALU_CYCLE_1)
	s_cmp_lg_u64 s[8:9], 0
	s_cbranch_scc0 .LBB0_46
; %bb.1:
	v_cvt_f32_u32_e32 v1, s4
	v_cvt_f32_u32_e32 v2, s5
	s_sub_u32 s11, 0, s4
	s_subb_u32 s12, 0, s5
	s_delay_alu instid0(VALU_DEP_1) | instskip(NEXT) | instid1(VALU_DEP_1)
	v_fmamk_f32 v1, v2, 0x4f800000, v1
	v_rcp_f32_e32 v1, v1
	s_waitcnt_depctr 0xfff
	v_mul_f32_e32 v1, 0x5f7ffffc, v1
	s_delay_alu instid0(VALU_DEP_1) | instskip(NEXT) | instid1(VALU_DEP_1)
	v_mul_f32_e32 v2, 0x2f800000, v1
	v_trunc_f32_e32 v2, v2
	s_delay_alu instid0(VALU_DEP_1) | instskip(SKIP_1) | instid1(VALU_DEP_2)
	v_fmamk_f32 v1, v2, 0xcf800000, v1
	v_cvt_u32_f32_e32 v2, v2
	v_cvt_u32_f32_e32 v1, v1
	s_delay_alu instid0(VALU_DEP_2) | instskip(NEXT) | instid1(VALU_DEP_2)
	v_readfirstlane_b32 s9, v2
	v_readfirstlane_b32 s10, v1
	s_delay_alu instid0(VALU_DEP_2) | instskip(NEXT) | instid1(VALU_DEP_1)
	s_mul_i32 s13, s11, s9
	s_mul_hi_u32 s15, s11, s10
	s_mul_i32 s14, s12, s10
	s_add_i32 s13, s15, s13
	s_mul_i32 s18, s11, s10
	s_add_i32 s13, s13, s14
	s_mul_hi_u32 s15, s10, s18
	s_mul_hi_u32 s19, s9, s18
	s_mul_i32 s14, s9, s18
	s_mul_hi_u32 s18, s10, s13
	s_mul_i32 s10, s10, s13
	s_mul_hi_u32 s20, s9, s13
	s_add_u32 s10, s15, s10
	s_addc_u32 s15, 0, s18
	s_add_u32 s10, s10, s14
	s_mul_i32 s13, s9, s13
	s_addc_u32 s10, s15, s19
	s_addc_u32 s14, s20, 0
	s_add_u32 s10, s10, s13
	s_addc_u32 s13, 0, s14
	v_add_co_u32 v1, s10, v1, s10
	s_delay_alu instid0(VALU_DEP_1) | instskip(SKIP_1) | instid1(VALU_DEP_1)
	s_cmp_lg_u32 s10, 0
	s_addc_u32 s9, s9, s13
	v_readfirstlane_b32 s10, v1
	s_mul_i32 s13, s11, s9
	s_delay_alu instid0(VALU_DEP_1)
	s_mul_hi_u32 s14, s11, s10
	s_mul_i32 s12, s12, s10
	s_add_i32 s13, s14, s13
	s_mul_i32 s11, s11, s10
	s_add_i32 s13, s13, s12
	s_mul_hi_u32 s14, s9, s11
	s_mul_i32 s15, s9, s11
	s_mul_hi_u32 s11, s10, s11
	s_mul_hi_u32 s18, s10, s13
	s_mul_i32 s10, s10, s13
	s_mul_hi_u32 s12, s9, s13
	s_add_u32 s10, s11, s10
	s_addc_u32 s11, 0, s18
	s_add_u32 s10, s10, s15
	s_mul_i32 s13, s9, s13
	s_addc_u32 s10, s11, s14
	s_addc_u32 s11, s12, 0
	s_add_u32 s10, s10, s13
	s_addc_u32 s11, 0, s11
	v_add_co_u32 v1, s10, v1, s10
	s_delay_alu instid0(VALU_DEP_1) | instskip(SKIP_1) | instid1(VALU_DEP_1)
	s_cmp_lg_u32 s10, 0
	s_addc_u32 s9, s9, s11
	v_readfirstlane_b32 s10, v1
	s_mul_i32 s12, s2, s9
	s_mul_hi_u32 s11, s2, s9
	s_mul_hi_u32 s13, s3, s9
	s_mul_i32 s9, s3, s9
	s_mul_hi_u32 s14, s2, s10
	s_mul_hi_u32 s15, s3, s10
	s_mul_i32 s10, s3, s10
	s_add_u32 s12, s14, s12
	s_addc_u32 s11, 0, s11
	s_add_u32 s10, s12, s10
	s_addc_u32 s10, s11, s15
	s_addc_u32 s11, s13, 0
	s_add_u32 s9, s10, s9
	s_addc_u32 s10, 0, s11
	s_mul_hi_u32 s11, s4, s9
	s_mul_i32 s13, s4, s10
	s_mul_i32 s14, s4, s9
	s_add_i32 s11, s11, s13
	v_sub_co_u32 v1, s13, s2, s14
	s_mul_i32 s12, s5, s9
	s_delay_alu instid0(SALU_CYCLE_1) | instskip(NEXT) | instid1(VALU_DEP_1)
	s_add_i32 s11, s11, s12
	v_sub_co_u32 v2, s14, v1, s4
	s_sub_i32 s12, s3, s11
	s_cmp_lg_u32 s13, 0
	s_subb_u32 s12, s12, s5
	s_cmp_lg_u32 s14, 0
	v_readfirstlane_b32 s14, v2
	s_subb_u32 s12, s12, 0
	s_delay_alu instid0(SALU_CYCLE_1) | instskip(SKIP_1) | instid1(VALU_DEP_1)
	s_cmp_ge_u32 s12, s5
	s_cselect_b32 s15, -1, 0
	s_cmp_ge_u32 s14, s4
	s_cselect_b32 s14, -1, 0
	s_cmp_eq_u32 s12, s5
	s_cselect_b32 s12, s14, s15
	s_add_u32 s14, s9, 1
	s_addc_u32 s15, s10, 0
	s_add_u32 s18, s9, 2
	s_addc_u32 s19, s10, 0
	s_cmp_lg_u32 s12, 0
	s_cselect_b32 s12, s18, s14
	s_cselect_b32 s14, s19, s15
	s_cmp_lg_u32 s13, 0
	v_readfirstlane_b32 s13, v1
	s_subb_u32 s3, s3, s11
	s_delay_alu instid0(SALU_CYCLE_1) | instskip(SKIP_1) | instid1(VALU_DEP_1)
	s_cmp_ge_u32 s3, s5
	s_cselect_b32 s11, -1, 0
	s_cmp_ge_u32 s13, s4
	s_cselect_b32 s13, -1, 0
	s_cmp_eq_u32 s3, s5
	s_cselect_b32 s3, s13, s11
	s_delay_alu instid0(SALU_CYCLE_1)
	s_cmp_lg_u32 s3, 0
	s_cselect_b32 s21, s14, s10
	s_cselect_b32 s20, s12, s9
	s_load_b64 s[18:19], s[0:1], 0x0
	s_and_not1_b32 vcc_lo, exec_lo, s8
	s_cbranch_vccnz .LBB0_3
.LBB0_2:
	v_cvt_f32_u32_e32 v1, s4
	s_sub_i32 s5, 0, s4
	s_mov_b32 s21, 0
	s_delay_alu instid0(VALU_DEP_1) | instskip(SKIP_2) | instid1(VALU_DEP_1)
	v_rcp_iflag_f32_e32 v1, v1
	s_waitcnt_depctr 0xfff
	v_mul_f32_e32 v1, 0x4f7ffffe, v1
	v_cvt_u32_f32_e32 v1, v1
	s_delay_alu instid0(VALU_DEP_1) | instskip(NEXT) | instid1(VALU_DEP_1)
	v_readfirstlane_b32 s3, v1
	s_mul_i32 s5, s5, s3
	s_delay_alu instid0(SALU_CYCLE_1) | instskip(NEXT) | instid1(SALU_CYCLE_1)
	s_mul_hi_u32 s5, s3, s5
	s_add_i32 s3, s3, s5
	s_delay_alu instid0(SALU_CYCLE_1) | instskip(NEXT) | instid1(SALU_CYCLE_1)
	s_mul_hi_u32 s3, s2, s3
	s_mul_i32 s5, s3, s4
	s_delay_alu instid0(SALU_CYCLE_1)
	s_sub_i32 s2, s2, s5
	s_add_i32 s5, s3, 1
	s_sub_i32 s8, s2, s4
	s_cmp_ge_u32 s2, s4
	s_cselect_b32 s3, s5, s3
	s_cselect_b32 s2, s8, s2
	s_add_i32 s5, s3, 1
	s_cmp_ge_u32 s2, s4
	s_cselect_b32 s20, s5, s3
.LBB0_3:
	s_clause 0x1
	s_load_b256 s[8:15], s[0:1], 0x8
	s_load_b64 s[26:27], s[0:1], 0x28
	v_mov_b32_e32 v1, 0
	s_mov_b32 s25, 0
	s_mul_i32 s5, s21, s24
	s_mul_hi_u32 s28, s20, s24
	s_mul_i32 s22, s20, s24
	v_cmp_gt_u64_e64 s2, s[20:21], v[0:1]
	v_mov_b32_e32 v4, v1
	v_mov_b32_e32 v5, v1
	s_delay_alu instid0(VALU_DEP_3)
	s_and_saveexec_b32 s3, s2
	s_cbranch_execz .LBB0_7
; %bb.4:
	s_add_i32 s23, s28, s5
	v_dual_mov_b32 v4, 0 :: v_dual_mov_b32 v5, 0
	s_lshl_b64 s[30:31], s[22:23], 2
	v_dual_mov_b32 v3, v1 :: v_dual_mov_b32 v2, v0
	s_waitcnt lgkmcnt(0)
	s_add_u32 s4, s18, s30
	s_addc_u32 s29, s19, s31
	s_mov_b32 s23, s25
	.p2align	6
.LBB0_5:                                ; =>This Inner Loop Header: Depth=1
	v_lshlrev_b64 v[6:7], 2, v[2:3]
	s_delay_alu instid0(VALU_DEP_1) | instskip(NEXT) | instid1(VALU_DEP_2)
	v_add_co_u32 v6, vcc_lo, s4, v6
	v_add_co_ci_u32_e32 v7, vcc_lo, s29, v7, vcc_lo
	v_add_co_u32 v2, vcc_lo, 0x100, v2
	v_add_co_ci_u32_e32 v3, vcc_lo, 0, v3, vcc_lo
	global_load_b32 v6, v[6:7], off
	v_cmp_le_u64_e32 vcc_lo, s[20:21], v[2:3]
	s_or_b32 s23, vcc_lo, s23
	s_waitcnt vmcnt(0)
	v_add_f32_e32 v4, v4, v6
	v_fmac_f32_e32 v5, v6, v6
	s_and_not1_b32 exec_lo, exec_lo, s23
	s_cbranch_execnz .LBB0_5
; %bb.6:
	s_or_b32 exec_lo, exec_lo, s23
.LBB0_7:
	s_delay_alu instid0(SALU_CYCLE_1) | instskip(SKIP_2) | instid1(VALU_DEP_1)
	s_or_b32 exec_lo, exec_lo, s3
	v_lshlrev_b32_e32 v3, 2, v0
	s_mov_b32 s3, exec_lo
	v_add_nc_u32_e32 v2, 0x400, v3
	ds_store_2addr_stride64_b32 v3, v4, v5 offset1:4
	s_waitcnt lgkmcnt(0)
	s_barrier
	buffer_gl0_inv
	v_cmpx_gt_u32_e32 0x80, v0
	s_cbranch_execz .LBB0_9
; %bb.8:
	ds_load_2addr_stride64_b32 v[4:5], v3 offset1:2
	s_waitcnt lgkmcnt(0)
	v_add_f32_e32 v4, v5, v4
	ds_store_b32 v3, v4
	ds_load_2addr_stride64_b32 v[4:5], v2 offset1:2
	s_waitcnt lgkmcnt(0)
	v_add_f32_e32 v4, v5, v4
	ds_store_b32 v2, v4
.LBB0_9:
	s_or_b32 exec_lo, exec_lo, s3
	s_delay_alu instid0(SALU_CYCLE_1)
	s_mov_b32 s3, exec_lo
	s_waitcnt lgkmcnt(0)
	s_barrier
	buffer_gl0_inv
	v_cmpx_gt_u32_e32 64, v0
	s_cbranch_execz .LBB0_11
; %bb.10:
	ds_load_2addr_stride64_b32 v[4:5], v3 offset1:1
	s_waitcnt lgkmcnt(0)
	v_add_f32_e32 v4, v5, v4
	ds_store_b32 v3, v4
	ds_load_2addr_stride64_b32 v[4:5], v2 offset1:1
	s_waitcnt lgkmcnt(0)
	v_add_f32_e32 v4, v5, v4
	ds_store_b32 v2, v4
.LBB0_11:
	s_or_b32 exec_lo, exec_lo, s3
	s_delay_alu instid0(SALU_CYCLE_1)
	s_mov_b32 s3, exec_lo
	s_waitcnt lgkmcnt(0)
	s_barrier
	buffer_gl0_inv
	v_cmpx_gt_u32_e32 32, v0
	s_cbranch_execz .LBB0_13
; %bb.12:
	ds_load_2addr_b32 v[4:5], v3 offset1:32
	s_waitcnt lgkmcnt(0)
	v_add_f32_e32 v4, v5, v4
	ds_store_b32 v3, v4
	ds_load_2addr_b32 v[4:5], v2 offset1:32
	s_waitcnt lgkmcnt(0)
	v_add_f32_e32 v4, v5, v4
	ds_store_b32 v2, v4
.LBB0_13:
	s_or_b32 exec_lo, exec_lo, s3
	s_delay_alu instid0(SALU_CYCLE_1)
	s_mov_b32 s3, exec_lo
	s_waitcnt lgkmcnt(0)
	s_barrier
	buffer_gl0_inv
	v_cmpx_gt_u32_e32 16, v0
	s_cbranch_execz .LBB0_15
; %bb.14:
	ds_load_2addr_b32 v[4:5], v3 offset1:16
	s_waitcnt lgkmcnt(0)
	v_add_f32_e32 v4, v5, v4
	ds_store_b32 v3, v4
	ds_load_2addr_b32 v[4:5], v2 offset1:16
	s_waitcnt lgkmcnt(0)
	v_add_f32_e32 v4, v5, v4
	ds_store_b32 v2, v4
.LBB0_15:
	;; [unrolled: 18-line block ×5, first 2 shown]
	s_or_b32 exec_lo, exec_lo, s3
	v_cmp_eq_u32_e64 s3, 0, v0
	s_waitcnt lgkmcnt(0)
	s_barrier
	buffer_gl0_inv
	s_and_saveexec_b32 s4, s3
	s_cbranch_execz .LBB0_23
; %bb.22:
	v_mov_b32_e32 v4, 0
	ds_load_b32 v5, v4 offset:4
	ds_load_b32 v6, v3
	s_waitcnt lgkmcnt(0)
	v_add_f32_e32 v5, v5, v6
	ds_store_b32 v3, v5
	ds_load_b32 v3, v4 offset:1028
	ds_load_b32 v4, v2
	s_waitcnt lgkmcnt(0)
	v_add_f32_e32 v3, v3, v4
	ds_store_b32 v2, v3
.LBB0_23:
	s_or_b32 exec_lo, exec_lo, s4
	v_mov_b32_e32 v2, 0
	s_waitcnt lgkmcnt(0)
	s_barrier
	buffer_gl0_inv
	s_clz_i32_u32 s4, s21
	ds_load_2addr_stride64_b32 v[2:3], v2 offset1:4
	s_min_u32 s4, s4, 32
	s_delay_alu instid0(SALU_CYCLE_1) | instskip(SKIP_2) | instid1(SALU_CYCLE_1)
	s_lshl_b64 s[30:31], s[20:21], s4
	s_sub_i32 s4, 32, s4
	s_min_u32 s23, s30, 1
	s_or_b32 s23, s31, s23
	s_delay_alu instid0(SALU_CYCLE_1) | instskip(SKIP_1) | instid1(VALU_DEP_1)
	v_cvt_f32_u32_e32 v4, s23
	s_load_b32 s23, s[0:1], 0x30
	v_ldexp_f32 v4, v4, s4
	s_waitcnt lgkmcnt(0)
	s_delay_alu instid0(VALU_DEP_1) | instskip(SKIP_2) | instid1(VALU_DEP_3)
	v_div_scale_f32 v5, null, v4, v4, v2
	v_div_scale_f32 v6, null, v4, v4, v3
	v_div_scale_f32 v11, vcc_lo, v2, v4, v2
	v_rcp_f32_e32 v7, v5
	s_delay_alu instid0(VALU_DEP_2) | instskip(SKIP_3) | instid1(VALU_DEP_2)
	v_rcp_f32_e32 v8, v6
	s_waitcnt_depctr 0xfff
	v_fma_f32 v9, -v5, v7, 1.0
	v_fma_f32 v10, -v6, v8, 1.0
	v_fmac_f32_e32 v7, v9, v7
	v_div_scale_f32 v9, s4, v3, v4, v3
	s_delay_alu instid0(VALU_DEP_3) | instskip(NEXT) | instid1(VALU_DEP_3)
	v_fmac_f32_e32 v8, v10, v8
	v_mul_f32_e32 v10, v11, v7
	s_delay_alu instid0(VALU_DEP_2) | instskip(NEXT) | instid1(VALU_DEP_2)
	v_mul_f32_e32 v12, v9, v8
	v_fma_f32 v13, -v5, v10, v11
	s_delay_alu instid0(VALU_DEP_2) | instskip(NEXT) | instid1(VALU_DEP_2)
	v_fma_f32 v14, -v6, v12, v9
	v_fmac_f32_e32 v10, v13, v7
	s_delay_alu instid0(VALU_DEP_2) | instskip(NEXT) | instid1(VALU_DEP_2)
	v_fmac_f32_e32 v12, v14, v8
	v_fma_f32 v5, -v5, v10, v11
	s_delay_alu instid0(VALU_DEP_2) | instskip(NEXT) | instid1(VALU_DEP_2)
	v_fma_f32 v6, -v6, v12, v9
	v_div_fmas_f32 v5, v5, v7, v10
	s_mov_b32 vcc_lo, s4
	s_delay_alu instid0(VALU_DEP_2) | instskip(NEXT) | instid1(VALU_DEP_2)
	v_div_fmas_f32 v6, v6, v8, v12
	v_div_fixup_f32 v10, v5, v4, v2
	s_delay_alu instid0(VALU_DEP_2) | instskip(NEXT) | instid1(VALU_DEP_1)
	v_div_fixup_f32 v2, v6, v4, v3
	v_fma_f32 v2, -v10, v10, v2
	s_delay_alu instid0(VALU_DEP_1) | instskip(NEXT) | instid1(VALU_DEP_1)
	v_add_f32_e32 v2, s23, v2
	v_cvt_f64_f32_e32 v[2:3], v2
	s_delay_alu instid0(VALU_DEP_1) | instskip(SKIP_3) | instid1(VALU_DEP_2)
	v_rsq_f64_e32 v[4:5], v[2:3]
	s_waitcnt_depctr 0xfff
	v_mul_f64 v[2:3], v[4:5], -v[2:3]
	v_cmp_class_f64_e64 vcc_lo, v[4:5], 0x180
	v_fma_f64 v[2:3], v[2:3], v[4:5], 1.0
	s_delay_alu instid0(VALU_DEP_1) | instskip(SKIP_1) | instid1(VALU_DEP_1)
	v_mul_f64 v[6:7], v[4:5], v[2:3]
	v_fma_f64 v[2:3], 0x3fd80000, v[2:3], 0.5
	v_fma_f64 v[2:3], v[6:7], v[2:3], v[4:5]
	s_delay_alu instid0(VALU_DEP_1) | instskip(NEXT) | instid1(VALU_DEP_1)
	v_dual_cndmask_b32 v3, v5, v3 :: v_dual_cndmask_b32 v2, v4, v2
	v_cvt_f32_f64_e32 v11, v[2:3]
	s_and_saveexec_b32 s4, s3
	s_cbranch_execz .LBB0_28
; %bb.24:
	s_cmp_eq_u64 s[14:15], 0
	s_cbranch_scc1 .LBB0_26
; %bb.25:
	s_lshl_b64 s[30:31], s[24:25], 2
	v_mov_b32_e32 v2, 0
	s_add_u32 s14, s14, s30
	s_addc_u32 s15, s15, s31
	global_store_b32 v2, v10, s[14:15]
.LBB0_26:
	s_cmp_eq_u64 s[26:27], 0
	s_cbranch_scc1 .LBB0_28
; %bb.27:
	s_lshl_b64 s[14:15], s[24:25], 2
	v_mov_b32_e32 v2, 0
	s_add_u32 s14, s26, s14
	s_addc_u32 s15, s27, s15
	global_store_b32 v2, v11, s[14:15]
.LBB0_28:
	s_or_b32 exec_lo, exec_lo, s4
	s_and_saveexec_b32 s3, s2
	s_cbranch_execz .LBB0_45
; %bb.29:
	v_cvt_f32_u32_e32 v2, s16
	v_cvt_f32_u32_e32 v3, s17
	;; [unrolled: 1-line block ×5, first 2 shown]
	s_load_b32 s0, s[0:1], 0x50
	v_fmac_f32_e32 v2, 0x4f800000, v3
	s_mov_b32 s3, 0
	v_fmac_f32_e32 v5, 0x4f800000, v6
	v_rcp_iflag_f32_e32 v3, v4
	s_delay_alu instid0(VALU_DEP_2) | instskip(NEXT) | instid1(VALU_DEP_1)
	v_rcp_f32_e32 v2, v2
	v_rcp_f32_e32 v4, v5
	s_delay_alu instid0(TRANS32_DEP_3) | instskip(SKIP_4) | instid1(VALU_DEP_1)
	v_mul_f32_e32 v3, 0x4f7ffffe, v3
	s_waitcnt_depctr 0xfff
	v_dual_mul_f32 v5, 0x5f7ffffc, v2 :: v_dual_mul_f32 v4, 0x5f7ffffc, v4
	s_waitcnt lgkmcnt(0)
	s_bitcmp1_b32 s0, 0
	v_mul_f32_e32 v2, 0x2f800000, v5
	s_cselect_b32 s1, -1, 0
	v_mul_f32_e32 v7, 0x2f800000, v4
	s_sub_i32 s0, 0, s16
	s_add_i32 s2, s28, s5
	v_trunc_f32_e32 v8, v2
	v_mov_b32_e32 v2, 0
	v_cvt_u32_f32_e32 v3, v3
	v_trunc_f32_e32 v7, v7
	s_sub_i32 s4, 0, s6
	v_fmac_f32_e32 v5, 0xcf800000, v8
	v_cvt_u32_f32_e32 v12, v8
	v_mul_lo_u32 v6, s0, v3
	v_fmac_f32_e32 v4, 0xcf800000, v7
	v_cvt_u32_f32_e32 v16, v7
	v_cvt_u32_f32_e32 v13, v5
	s_delay_alu instid0(VALU_DEP_3) | instskip(SKIP_1) | instid1(VALU_DEP_1)
	v_cvt_u32_f32_e32 v14, v4
	v_mul_hi_u32 v6, v3, v6
	v_add_nc_u32_e32 v15, v3, v6
	s_branch .LBB0_31
.LBB0_30:                               ;   in Loop: Header=BB0_31 Depth=1
	v_lshlrev_b64 v[4:5], 2, v[4:5]
	s_delay_alu instid0(VALU_DEP_1) | instskip(NEXT) | instid1(VALU_DEP_2)
	v_add_co_u32 v6, vcc_lo, s18, v4
	v_add_co_ci_u32_e32 v7, vcc_lo, s19, v5, vcc_lo
	v_add_co_u32 v0, vcc_lo, 0x100, v0
	v_add_co_ci_u32_e32 v1, vcc_lo, 0, v1, vcc_lo
	global_load_b32 v6, v[6:7], off
	v_cmp_le_u64_e32 vcc_lo, s[20:21], v[0:1]
	s_or_b32 s3, vcc_lo, s3
	s_waitcnt vmcnt(0)
	v_sub_f32_e32 v6, v6, v10
	s_delay_alu instid0(VALU_DEP_1) | instskip(NEXT) | instid1(VALU_DEP_1)
	v_mul_f32_e32 v6, v6, v11
	v_fmac_f32_e32 v8, v3, v6
	v_add_co_u32 v3, s0, s12, v4
	s_delay_alu instid0(VALU_DEP_1)
	v_add_co_ci_u32_e64 v4, s0, s13, v5, s0
	global_store_b32 v[3:4], v8, off
	s_and_not1_b32 exec_lo, exec_lo, s3
	s_cbranch_execz .LBB0_45
.LBB0_31:                               ; =>This Inner Loop Header: Depth=1
	v_add_co_u32 v4, vcc_lo, v0, s22
	v_mov_b32_e32 v8, 0
	v_mov_b32_e32 v9, 0
	v_add_co_ci_u32_e32 v5, vcc_lo, s2, v1, vcc_lo
	s_and_not1_b32 vcc_lo, exec_lo, s1
	s_cbranch_vccz .LBB0_34
; %bb.32:                               ;   in Loop: Header=BB0_31 Depth=1
	s_delay_alu instid0(VALU_DEP_2)
	v_lshlrev_b64 v[6:7], 2, v[8:9]
	v_mov_b32_e32 v3, 1.0
	s_and_not1_b32 vcc_lo, exec_lo, s1
	s_cbranch_vccz .LBB0_43
.LBB0_33:                               ;   in Loop: Header=BB0_31 Depth=1
	v_mov_b32_e32 v8, 0
	s_and_not1_b32 vcc_lo, exec_lo, s1
	s_cbranch_vccnz .LBB0_30
	s_branch .LBB0_44
.LBB0_34:                               ;   in Loop: Header=BB0_31 Depth=1
	s_delay_alu instid0(VALU_DEP_1) | instskip(SKIP_1) | instid1(VALU_DEP_1)
	v_or_b32_e32 v3, s17, v5
                                        ; implicit-def: $vgpr6_vgpr7
	s_mov_b32 s0, exec_lo
	v_cmpx_ne_u64_e32 0, v[2:3]
	s_xor_b32 s5, exec_lo, s0
	s_cbranch_execz .LBB0_36
; %bb.35:                               ;   in Loop: Header=BB0_31 Depth=1
	s_sub_u32 s0, 0, s16
	s_subb_u32 s14, 0, s17
	v_mul_hi_u32 v3, s0, v13
	v_mul_lo_u32 v6, s0, v12
	v_mul_lo_u32 v7, s14, v13
	s_delay_alu instid0(VALU_DEP_2) | instskip(SKIP_1) | instid1(VALU_DEP_2)
	v_add_nc_u32_e32 v3, v3, v6
	v_mul_lo_u32 v6, s0, v13
	v_add_nc_u32_e32 v3, v3, v7
	s_delay_alu instid0(VALU_DEP_2) | instskip(NEXT) | instid1(VALU_DEP_2)
	v_mul_hi_u32 v7, v13, v6
	v_mul_lo_u32 v8, v13, v3
	v_mul_hi_u32 v9, v13, v3
	v_mul_hi_u32 v17, v12, v6
	v_mul_lo_u32 v6, v12, v6
	v_mul_hi_u32 v18, v12, v3
	v_mul_lo_u32 v3, v12, v3
	v_add_co_u32 v7, vcc_lo, v7, v8
	v_add_co_ci_u32_e32 v8, vcc_lo, 0, v9, vcc_lo
	s_delay_alu instid0(VALU_DEP_2) | instskip(NEXT) | instid1(VALU_DEP_2)
	v_add_co_u32 v6, vcc_lo, v7, v6
	v_add_co_ci_u32_e32 v6, vcc_lo, v8, v17, vcc_lo
	v_add_co_ci_u32_e32 v7, vcc_lo, 0, v18, vcc_lo
	s_delay_alu instid0(VALU_DEP_2) | instskip(NEXT) | instid1(VALU_DEP_2)
	v_add_co_u32 v3, vcc_lo, v6, v3
	v_add_co_ci_u32_e32 v6, vcc_lo, 0, v7, vcc_lo
	s_delay_alu instid0(VALU_DEP_2) | instskip(NEXT) | instid1(VALU_DEP_2)
	v_add_co_u32 v3, vcc_lo, v13, v3
	v_add_co_ci_u32_e32 v6, vcc_lo, v12, v6, vcc_lo
	s_delay_alu instid0(VALU_DEP_2) | instskip(SKIP_1) | instid1(VALU_DEP_3)
	v_mul_hi_u32 v7, s0, v3
	v_mul_lo_u32 v9, s14, v3
	v_mul_lo_u32 v8, s0, v6
	s_delay_alu instid0(VALU_DEP_1) | instskip(SKIP_1) | instid1(VALU_DEP_2)
	v_add_nc_u32_e32 v7, v7, v8
	v_mul_lo_u32 v8, s0, v3
	v_add_nc_u32_e32 v7, v7, v9
	s_delay_alu instid0(VALU_DEP_2) | instskip(NEXT) | instid1(VALU_DEP_2)
	v_mul_hi_u32 v9, v3, v8
	v_mul_lo_u32 v17, v3, v7
	v_mul_hi_u32 v18, v3, v7
	v_mul_hi_u32 v19, v6, v8
	v_mul_lo_u32 v8, v6, v8
	v_mul_hi_u32 v20, v6, v7
	v_mul_lo_u32 v7, v6, v7
	v_add_co_u32 v9, vcc_lo, v9, v17
	v_add_co_ci_u32_e32 v17, vcc_lo, 0, v18, vcc_lo
	s_delay_alu instid0(VALU_DEP_2) | instskip(NEXT) | instid1(VALU_DEP_2)
	v_add_co_u32 v8, vcc_lo, v9, v8
	v_add_co_ci_u32_e32 v8, vcc_lo, v17, v19, vcc_lo
	v_add_co_ci_u32_e32 v9, vcc_lo, 0, v20, vcc_lo
	s_delay_alu instid0(VALU_DEP_2) | instskip(NEXT) | instid1(VALU_DEP_2)
	v_add_co_u32 v7, vcc_lo, v8, v7
	v_add_co_ci_u32_e32 v8, vcc_lo, 0, v9, vcc_lo
	s_delay_alu instid0(VALU_DEP_2) | instskip(NEXT) | instid1(VALU_DEP_2)
	v_add_co_u32 v3, vcc_lo, v3, v7
	v_add_co_ci_u32_e32 v19, vcc_lo, v6, v8, vcc_lo
	s_delay_alu instid0(VALU_DEP_2) | instskip(SKIP_1) | instid1(VALU_DEP_3)
	v_mul_hi_u32 v20, v4, v3
	v_mad_u64_u32 v[8:9], null, v5, v3, 0
	v_mad_u64_u32 v[6:7], null, v4, v19, 0
	;; [unrolled: 1-line block ×3, first 2 shown]
	s_delay_alu instid0(VALU_DEP_2) | instskip(NEXT) | instid1(VALU_DEP_3)
	v_add_co_u32 v3, vcc_lo, v20, v6
	v_add_co_ci_u32_e32 v6, vcc_lo, 0, v7, vcc_lo
	s_delay_alu instid0(VALU_DEP_2) | instskip(NEXT) | instid1(VALU_DEP_2)
	v_add_co_u32 v3, vcc_lo, v3, v8
	v_add_co_ci_u32_e32 v3, vcc_lo, v6, v9, vcc_lo
	v_add_co_ci_u32_e32 v6, vcc_lo, 0, v18, vcc_lo
	s_delay_alu instid0(VALU_DEP_2) | instskip(NEXT) | instid1(VALU_DEP_2)
	v_add_co_u32 v3, vcc_lo, v3, v17
	v_add_co_ci_u32_e32 v8, vcc_lo, 0, v6, vcc_lo
	s_delay_alu instid0(VALU_DEP_2) | instskip(SKIP_1) | instid1(VALU_DEP_3)
	v_mul_lo_u32 v9, s17, v3
	v_mad_u64_u32 v[6:7], null, s16, v3, 0
	v_mul_lo_u32 v17, s16, v8
	s_delay_alu instid0(VALU_DEP_2) | instskip(NEXT) | instid1(VALU_DEP_2)
	v_sub_co_u32 v6, vcc_lo, v4, v6
	v_add3_u32 v7, v7, v17, v9
	s_delay_alu instid0(VALU_DEP_1) | instskip(NEXT) | instid1(VALU_DEP_1)
	v_sub_nc_u32_e32 v9, v5, v7
	v_subrev_co_ci_u32_e64 v9, s0, s17, v9, vcc_lo
	v_add_co_u32 v17, s0, v3, 2
	s_delay_alu instid0(VALU_DEP_1) | instskip(SKIP_3) | instid1(VALU_DEP_3)
	v_add_co_ci_u32_e64 v18, s0, 0, v8, s0
	v_sub_co_u32 v19, s0, v6, s16
	v_sub_co_ci_u32_e32 v7, vcc_lo, v5, v7, vcc_lo
	v_subrev_co_ci_u32_e64 v9, s0, 0, v9, s0
	v_cmp_le_u32_e32 vcc_lo, s16, v19
	s_delay_alu instid0(VALU_DEP_3) | instskip(SKIP_1) | instid1(VALU_DEP_4)
	v_cmp_eq_u32_e64 s0, s17, v7
	v_cndmask_b32_e64 v19, 0, -1, vcc_lo
	v_cmp_le_u32_e32 vcc_lo, s17, v9
	v_cndmask_b32_e64 v20, 0, -1, vcc_lo
	v_cmp_le_u32_e32 vcc_lo, s16, v6
	;; [unrolled: 2-line block ×3, first 2 shown]
	v_cndmask_b32_e64 v21, 0, -1, vcc_lo
	v_cmp_eq_u32_e32 vcc_lo, s17, v9
	s_delay_alu instid0(VALU_DEP_2) | instskip(SKIP_3) | instid1(VALU_DEP_3)
	v_cndmask_b32_e64 v6, v21, v6, s0
	v_cndmask_b32_e32 v9, v20, v19, vcc_lo
	v_add_co_u32 v19, vcc_lo, v3, 1
	v_add_co_ci_u32_e32 v20, vcc_lo, 0, v8, vcc_lo
	v_cmp_ne_u32_e32 vcc_lo, 0, v9
	s_delay_alu instid0(VALU_DEP_3) | instskip(NEXT) | instid1(VALU_DEP_3)
	v_cndmask_b32_e32 v9, v19, v17, vcc_lo
	v_cndmask_b32_e32 v7, v20, v18, vcc_lo
	v_cmp_ne_u32_e32 vcc_lo, 0, v6
	s_delay_alu instid0(VALU_DEP_2)
	v_dual_cndmask_b32 v6, v3, v9 :: v_dual_cndmask_b32 v7, v8, v7
.LBB0_36:                               ;   in Loop: Header=BB0_31 Depth=1
	s_and_not1_saveexec_b32 s0, s5
; %bb.37:                               ;   in Loop: Header=BB0_31 Depth=1
	v_mul_hi_u32 v3, v4, v15
	s_delay_alu instid0(VALU_DEP_1) | instskip(NEXT) | instid1(VALU_DEP_1)
	v_mul_lo_u32 v6, v3, s16
	v_sub_nc_u32_e32 v6, v4, v6
	s_delay_alu instid0(VALU_DEP_1) | instskip(SKIP_1) | instid1(VALU_DEP_2)
	v_subrev_nc_u32_e32 v8, s16, v6
	v_cmp_le_u32_e32 vcc_lo, s16, v6
	v_dual_cndmask_b32 v6, v6, v8 :: v_dual_add_nc_u32 v7, 1, v3
	s_delay_alu instid0(VALU_DEP_1) | instskip(NEXT) | instid1(VALU_DEP_2)
	v_cndmask_b32_e32 v3, v3, v7, vcc_lo
	v_cmp_le_u32_e32 vcc_lo, s16, v6
	s_delay_alu instid0(VALU_DEP_2) | instskip(NEXT) | instid1(VALU_DEP_1)
	v_add_nc_u32_e32 v7, 1, v3
	v_dual_cndmask_b32 v6, v3, v7 :: v_dual_mov_b32 v7, v2
; %bb.38:                               ;   in Loop: Header=BB0_31 Depth=1
	s_or_b32 exec_lo, exec_lo, s0
	s_delay_alu instid0(VALU_DEP_1) | instskip(SKIP_1) | instid1(VALU_DEP_1)
	v_or_b32_e32 v3, s7, v7
                                        ; implicit-def: $vgpr8_vgpr9
	s_mov_b32 s0, exec_lo
	v_cmpx_ne_u64_e32 0, v[2:3]
	s_xor_b32 s5, exec_lo, s0
	s_cbranch_execz .LBB0_40
; %bb.39:                               ;   in Loop: Header=BB0_31 Depth=1
	s_sub_u32 s0, 0, s6
	s_subb_u32 s14, 0, s7
	v_mul_hi_u32 v3, s0, v14
	v_mul_lo_u32 v8, s0, v16
	v_mul_lo_u32 v9, s14, v14
	s_delay_alu instid0(VALU_DEP_2) | instskip(SKIP_1) | instid1(VALU_DEP_2)
	v_add_nc_u32_e32 v3, v3, v8
	v_mul_lo_u32 v8, s0, v14
	v_add_nc_u32_e32 v3, v3, v9
	s_delay_alu instid0(VALU_DEP_2) | instskip(NEXT) | instid1(VALU_DEP_2)
	v_mul_hi_u32 v9, v14, v8
	v_mul_lo_u32 v17, v14, v3
	v_mul_hi_u32 v18, v14, v3
	v_mul_hi_u32 v19, v16, v8
	v_mul_lo_u32 v8, v16, v8
	v_mul_hi_u32 v20, v16, v3
	v_mul_lo_u32 v3, v16, v3
	v_add_co_u32 v9, vcc_lo, v9, v17
	v_add_co_ci_u32_e32 v17, vcc_lo, 0, v18, vcc_lo
	s_delay_alu instid0(VALU_DEP_2) | instskip(NEXT) | instid1(VALU_DEP_2)
	v_add_co_u32 v8, vcc_lo, v9, v8
	v_add_co_ci_u32_e32 v8, vcc_lo, v17, v19, vcc_lo
	v_add_co_ci_u32_e32 v9, vcc_lo, 0, v20, vcc_lo
	s_delay_alu instid0(VALU_DEP_2) | instskip(NEXT) | instid1(VALU_DEP_2)
	v_add_co_u32 v3, vcc_lo, v8, v3
	v_add_co_ci_u32_e32 v8, vcc_lo, 0, v9, vcc_lo
	s_delay_alu instid0(VALU_DEP_2) | instskip(NEXT) | instid1(VALU_DEP_2)
	v_add_co_u32 v3, vcc_lo, v14, v3
	v_add_co_ci_u32_e32 v8, vcc_lo, v16, v8, vcc_lo
	s_delay_alu instid0(VALU_DEP_2) | instskip(SKIP_1) | instid1(VALU_DEP_3)
	v_mul_hi_u32 v9, s0, v3
	v_mul_lo_u32 v18, s14, v3
	v_mul_lo_u32 v17, s0, v8
	s_delay_alu instid0(VALU_DEP_1) | instskip(SKIP_1) | instid1(VALU_DEP_2)
	v_add_nc_u32_e32 v9, v9, v17
	v_mul_lo_u32 v17, s0, v3
	v_add_nc_u32_e32 v9, v9, v18
	s_delay_alu instid0(VALU_DEP_2) | instskip(NEXT) | instid1(VALU_DEP_2)
	v_mul_hi_u32 v18, v3, v17
	v_mul_lo_u32 v19, v3, v9
	v_mul_hi_u32 v20, v3, v9
	v_mul_hi_u32 v21, v8, v17
	v_mul_lo_u32 v17, v8, v17
	v_mul_hi_u32 v22, v8, v9
	v_mul_lo_u32 v9, v8, v9
	v_add_co_u32 v18, vcc_lo, v18, v19
	v_add_co_ci_u32_e32 v19, vcc_lo, 0, v20, vcc_lo
	s_delay_alu instid0(VALU_DEP_2) | instskip(NEXT) | instid1(VALU_DEP_2)
	v_add_co_u32 v17, vcc_lo, v18, v17
	v_add_co_ci_u32_e32 v17, vcc_lo, v19, v21, vcc_lo
	v_add_co_ci_u32_e32 v18, vcc_lo, 0, v22, vcc_lo
	s_delay_alu instid0(VALU_DEP_2) | instskip(NEXT) | instid1(VALU_DEP_2)
	v_add_co_u32 v9, vcc_lo, v17, v9
	v_add_co_ci_u32_e32 v17, vcc_lo, 0, v18, vcc_lo
	s_delay_alu instid0(VALU_DEP_2) | instskip(NEXT) | instid1(VALU_DEP_2)
	v_add_co_u32 v3, vcc_lo, v3, v9
	v_add_co_ci_u32_e32 v21, vcc_lo, v8, v17, vcc_lo
	s_delay_alu instid0(VALU_DEP_2) | instskip(SKIP_1) | instid1(VALU_DEP_3)
	v_mul_hi_u32 v22, v6, v3
	v_mad_u64_u32 v[17:18], null, v7, v3, 0
	v_mad_u64_u32 v[8:9], null, v6, v21, 0
	v_mad_u64_u32 v[19:20], null, v7, v21, 0
	s_delay_alu instid0(VALU_DEP_2) | instskip(NEXT) | instid1(VALU_DEP_3)
	v_add_co_u32 v3, vcc_lo, v22, v8
	v_add_co_ci_u32_e32 v8, vcc_lo, 0, v9, vcc_lo
	s_delay_alu instid0(VALU_DEP_2) | instskip(NEXT) | instid1(VALU_DEP_2)
	v_add_co_u32 v3, vcc_lo, v3, v17
	v_add_co_ci_u32_e32 v3, vcc_lo, v8, v18, vcc_lo
	v_add_co_ci_u32_e32 v8, vcc_lo, 0, v20, vcc_lo
	s_delay_alu instid0(VALU_DEP_2) | instskip(NEXT) | instid1(VALU_DEP_2)
	v_add_co_u32 v3, vcc_lo, v3, v19
	v_add_co_ci_u32_e32 v17, vcc_lo, 0, v8, vcc_lo
	s_delay_alu instid0(VALU_DEP_2) | instskip(SKIP_1) | instid1(VALU_DEP_3)
	v_mul_lo_u32 v18, s7, v3
	v_mad_u64_u32 v[8:9], null, s6, v3, 0
	v_mul_lo_u32 v3, s6, v17
	s_delay_alu instid0(VALU_DEP_2) | instskip(NEXT) | instid1(VALU_DEP_2)
	v_sub_co_u32 v6, vcc_lo, v6, v8
	v_add3_u32 v3, v9, v3, v18
	s_delay_alu instid0(VALU_DEP_1) | instskip(NEXT) | instid1(VALU_DEP_1)
	v_sub_nc_u32_e32 v9, v7, v3
	v_subrev_co_ci_u32_e64 v8, s0, s7, v9, vcc_lo
	v_sub_co_ci_u32_e32 v3, vcc_lo, v7, v3, vcc_lo
	v_sub_co_u32 v7, vcc_lo, v6, s6
	s_delay_alu instid0(VALU_DEP_1) | instskip(SKIP_3) | instid1(VALU_DEP_3)
	v_subrev_co_ci_u32_e64 v9, s0, 0, v8, vcc_lo
	v_cmp_le_u32_e64 s0, s6, v6
	v_subrev_co_ci_u32_e32 v8, vcc_lo, s7, v8, vcc_lo
	v_cmp_le_u32_e32 vcc_lo, s7, v3
	v_cndmask_b32_e64 v17, 0, -1, s0
	v_cmp_le_u32_e64 s0, s6, v7
	v_cndmask_b32_e64 v20, 0, -1, vcc_lo
	v_cmp_eq_u32_e32 vcc_lo, s7, v9
	s_delay_alu instid0(VALU_DEP_3) | instskip(SKIP_1) | instid1(VALU_DEP_1)
	v_cndmask_b32_e64 v18, 0, -1, s0
	v_cmp_le_u32_e64 s0, s7, v9
	v_cndmask_b32_e64 v19, 0, -1, s0
	v_cmp_eq_u32_e64 s0, s7, v3
	s_delay_alu instid0(VALU_DEP_2) | instskip(SKIP_2) | instid1(VALU_DEP_3)
	v_cndmask_b32_e32 v18, v19, v18, vcc_lo
	v_sub_co_u32 v19, vcc_lo, v7, s6
	v_subrev_co_ci_u32_e32 v8, vcc_lo, 0, v8, vcc_lo
	v_cmp_ne_u32_e32 vcc_lo, 0, v18
	v_cndmask_b32_e64 v17, v20, v17, s0
	s_delay_alu instid0(VALU_DEP_3) | instskip(NEXT) | instid1(VALU_DEP_2)
	v_dual_cndmask_b32 v8, v9, v8 :: v_dual_cndmask_b32 v7, v7, v19
	v_cmp_ne_u32_e32 vcc_lo, 0, v17
	s_delay_alu instid0(VALU_DEP_2)
	v_dual_cndmask_b32 v9, v3, v8 :: v_dual_cndmask_b32 v8, v6, v7
                                        ; implicit-def: $vgpr6_vgpr7
.LBB0_40:                               ;   in Loop: Header=BB0_31 Depth=1
	s_and_not1_saveexec_b32 s0, s5
	s_cbranch_execz .LBB0_42
; %bb.41:                               ;   in Loop: Header=BB0_31 Depth=1
	v_cvt_f32_u32_e32 v3, s6
	v_mov_b32_e32 v9, v2
	s_delay_alu instid0(VALU_DEP_2) | instskip(SKIP_2) | instid1(VALU_DEP_1)
	v_rcp_iflag_f32_e32 v3, v3
	s_waitcnt_depctr 0xfff
	v_mul_f32_e32 v3, 0x4f7ffffe, v3
	v_cvt_u32_f32_e32 v3, v3
	s_delay_alu instid0(VALU_DEP_1) | instskip(NEXT) | instid1(VALU_DEP_1)
	v_mul_lo_u32 v7, s4, v3
	v_mul_hi_u32 v7, v3, v7
	s_delay_alu instid0(VALU_DEP_1) | instskip(NEXT) | instid1(VALU_DEP_1)
	v_add_nc_u32_e32 v3, v3, v7
	v_mul_hi_u32 v3, v6, v3
	s_delay_alu instid0(VALU_DEP_1) | instskip(NEXT) | instid1(VALU_DEP_1)
	v_mul_lo_u32 v3, v3, s6
	v_sub_nc_u32_e32 v3, v6, v3
	s_delay_alu instid0(VALU_DEP_1) | instskip(SKIP_1) | instid1(VALU_DEP_2)
	v_subrev_nc_u32_e32 v6, s6, v3
	v_cmp_le_u32_e32 vcc_lo, s6, v3
	v_cndmask_b32_e32 v3, v3, v6, vcc_lo
	s_delay_alu instid0(VALU_DEP_1) | instskip(SKIP_1) | instid1(VALU_DEP_2)
	v_subrev_nc_u32_e32 v6, s6, v3
	v_cmp_le_u32_e32 vcc_lo, s6, v3
	v_cndmask_b32_e32 v8, v3, v6, vcc_lo
.LBB0_42:                               ;   in Loop: Header=BB0_31 Depth=1
	s_or_b32 exec_lo, exec_lo, s0
	s_delay_alu instid0(VALU_DEP_1)
	v_lshlrev_b64 v[6:7], 2, v[8:9]
	v_mov_b32_e32 v3, 1.0
	s_and_not1_b32 vcc_lo, exec_lo, s1
	s_cbranch_vccnz .LBB0_33
.LBB0_43:                               ;   in Loop: Header=BB0_31 Depth=1
	s_delay_alu instid0(VALU_DEP_2) | instskip(NEXT) | instid1(VALU_DEP_3)
	v_add_co_u32 v8, vcc_lo, s8, v6
	v_add_co_ci_u32_e32 v9, vcc_lo, s9, v7, vcc_lo
	global_load_b32 v3, v[8:9], off
	v_mov_b32_e32 v8, 0
	s_and_not1_b32 vcc_lo, exec_lo, s1
	s_cbranch_vccnz .LBB0_30
.LBB0_44:                               ;   in Loop: Header=BB0_31 Depth=1
	v_add_co_u32 v6, vcc_lo, s10, v6
	v_add_co_ci_u32_e32 v7, vcc_lo, s11, v7, vcc_lo
	global_load_b32 v8, v[6:7], off
	s_branch .LBB0_30
.LBB0_45:
	s_nop 0
	s_sendmsg sendmsg(MSG_DEALLOC_VGPRS)
	s_endpgm
.LBB0_46:
                                        ; implicit-def: $sgpr20_sgpr21
	s_load_b64 s[18:19], s[0:1], 0x0
	s_branch .LBB0_2
	.section	.rodata,"a",@progbits
	.p2align	6, 0x0
	.amdhsa_kernel GroupNormFwdContiguous
		.amdhsa_group_segment_fixed_size 2048
		.amdhsa_private_segment_fixed_size 0
		.amdhsa_kernarg_size 84
		.amdhsa_user_sgpr_count 15
		.amdhsa_user_sgpr_dispatch_ptr 0
		.amdhsa_user_sgpr_queue_ptr 0
		.amdhsa_user_sgpr_kernarg_segment_ptr 1
		.amdhsa_user_sgpr_dispatch_id 0
		.amdhsa_user_sgpr_private_segment_size 0
		.amdhsa_wavefront_size32 1
		.amdhsa_uses_dynamic_stack 0
		.amdhsa_enable_private_segment 0
		.amdhsa_system_sgpr_workgroup_id_x 1
		.amdhsa_system_sgpr_workgroup_id_y 0
		.amdhsa_system_sgpr_workgroup_id_z 0
		.amdhsa_system_sgpr_workgroup_info 0
		.amdhsa_system_vgpr_workitem_id 0
		.amdhsa_next_free_vgpr 23
		.amdhsa_next_free_sgpr 32
		.amdhsa_reserve_vcc 1
		.amdhsa_float_round_mode_32 0
		.amdhsa_float_round_mode_16_64 0
		.amdhsa_float_denorm_mode_32 3
		.amdhsa_float_denorm_mode_16_64 3
		.amdhsa_dx10_clamp 1
		.amdhsa_ieee_mode 1
		.amdhsa_fp16_overflow 0
		.amdhsa_workgroup_processor_mode 1
		.amdhsa_memory_ordered 1
		.amdhsa_forward_progress 0
		.amdhsa_shared_vgpr_count 0
		.amdhsa_exception_fp_ieee_invalid_op 0
		.amdhsa_exception_fp_denorm_src 0
		.amdhsa_exception_fp_ieee_div_zero 0
		.amdhsa_exception_fp_ieee_overflow 0
		.amdhsa_exception_fp_ieee_underflow 0
		.amdhsa_exception_fp_ieee_inexact 0
		.amdhsa_exception_int_div_zero 0
	.end_amdhsa_kernel
	.text
.Lfunc_end0:
	.size	GroupNormFwdContiguous, .Lfunc_end0-GroupNormFwdContiguous
                                        ; -- End function
	.section	.AMDGPU.csdata,"",@progbits
; Kernel info:
; codeLenInByte = 4200
; NumSgprs: 34
; NumVgprs: 23
; ScratchSize: 0
; MemoryBound: 0
; FloatMode: 240
; IeeeMode: 1
; LDSByteSize: 2048 bytes/workgroup (compile time only)
; SGPRBlocks: 4
; VGPRBlocks: 2
; NumSGPRsForWavesPerEU: 34
; NumVGPRsForWavesPerEU: 23
; Occupancy: 16
; WaveLimiterHint : 0
; COMPUTE_PGM_RSRC2:SCRATCH_EN: 0
; COMPUTE_PGM_RSRC2:USER_SGPR: 15
; COMPUTE_PGM_RSRC2:TRAP_HANDLER: 0
; COMPUTE_PGM_RSRC2:TGID_X_EN: 1
; COMPUTE_PGM_RSRC2:TGID_Y_EN: 0
; COMPUTE_PGM_RSRC2:TGID_Z_EN: 0
; COMPUTE_PGM_RSRC2:TIDIG_COMP_CNT: 0
	.text
	.p2alignl 7, 3214868480
	.fill 96, 4, 3214868480
	.type	__hip_cuid_4ff35926c46eae3c,@object ; @__hip_cuid_4ff35926c46eae3c
	.section	.bss,"aw",@nobits
	.globl	__hip_cuid_4ff35926c46eae3c
__hip_cuid_4ff35926c46eae3c:
	.byte	0                               ; 0x0
	.size	__hip_cuid_4ff35926c46eae3c, 1

	.ident	"AMD clang version 19.0.0git (https://github.com/RadeonOpenCompute/llvm-project roc-6.4.0 25133 c7fe45cf4b819c5991fe208aaa96edf142730f1d)"
	.section	".note.GNU-stack","",@progbits
	.addrsig
	.addrsig_sym __hip_cuid_4ff35926c46eae3c
	.amdgpu_metadata
---
amdhsa.kernels:
  - .args:
      - .actual_access:  read_only
        .address_space:  global
        .offset:         0
        .size:           8
        .value_kind:     global_buffer
      - .actual_access:  read_only
        .address_space:  global
        .offset:         8
        .size:           8
        .value_kind:     global_buffer
      - .actual_access:  read_only
        .address_space:  global
        .offset:         16
        .size:           8
        .value_kind:     global_buffer
      - .actual_access:  write_only
        .address_space:  global
        .offset:         24
        .size:           8
        .value_kind:     global_buffer
      - .actual_access:  write_only
        .address_space:  global
        .offset:         32
        .size:           8
        .value_kind:     global_buffer
      - .actual_access:  write_only
        .address_space:  global
        .offset:         40
        .size:           8
        .value_kind:     global_buffer
      - .offset:         48
        .size:           4
        .value_kind:     by_value
      - .offset:         56
        .size:           8
        .value_kind:     by_value
      - .offset:         64
        .size:           8
        .value_kind:     by_value
      - .offset:         72
        .size:           8
        .value_kind:     by_value
      - .offset:         80
        .size:           1
        .value_kind:     by_value
    .group_segment_fixed_size: 2048
    .kernarg_segment_align: 8
    .kernarg_segment_size: 84
    .language:       OpenCL C
    .language_version:
      - 2
      - 0
    .max_flat_workgroup_size: 1024
    .name:           GroupNormFwdContiguous
    .private_segment_fixed_size: 0
    .sgpr_count:     34
    .sgpr_spill_count: 0
    .symbol:         GroupNormFwdContiguous.kd
    .uniform_work_group_size: 1
    .uses_dynamic_stack: false
    .vgpr_count:     23
    .vgpr_spill_count: 0
    .wavefront_size: 32
    .workgroup_processor_mode: 1
amdhsa.target:   amdgcn-amd-amdhsa--gfx1100
amdhsa.version:
  - 1
  - 2
...

	.end_amdgpu_metadata
